;; amdgpu-corpus repo=ROCm/rocFFT kind=compiled arch=gfx1030 opt=O3
	.text
	.amdgcn_target "amdgcn-amd-amdhsa--gfx1030"
	.amdhsa_code_object_version 6
	.protected	bluestein_single_back_len1344_dim1_dp_op_CI_CI ; -- Begin function bluestein_single_back_len1344_dim1_dp_op_CI_CI
	.globl	bluestein_single_back_len1344_dim1_dp_op_CI_CI
	.p2align	8
	.type	bluestein_single_back_len1344_dim1_dp_op_CI_CI,@function
bluestein_single_back_len1344_dim1_dp_op_CI_CI: ; @bluestein_single_back_len1344_dim1_dp_op_CI_CI
; %bb.0:
	s_load_dwordx4 s[16:19], s[4:5], 0x28
	v_mul_u32_u24_e32 v1, 0x125, v0
	v_mov_b32_e32 v113, 0
	s_mov_b32 s0, exec_lo
	v_lshrrev_b32_e32 v1, 16, v1
	v_add_nc_u32_e32 v112, s6, v1
	s_waitcnt lgkmcnt(0)
	v_cmpx_gt_u64_e64 s[16:17], v[112:113]
	s_cbranch_execz .LBB0_10
; %bb.1:
	s_clause 0x1
	s_load_dwordx4 s[8:11], s[4:5], 0x18
	s_load_dwordx4 s[0:3], s[4:5], 0x0
	v_mul_lo_u16 v1, 0xe0, v1
	s_load_dwordx2 s[4:5], s[4:5], 0x38
	v_sub_nc_u16 v60, v0, v1
	v_and_b32_e32 v141, 0xffff, v60
	v_lshlrev_b32_e32 v142, 4, v141
	v_lshlrev_b32_e32 v147, 5, v141
	v_and_b32_e32 v78, 7, v141
	s_waitcnt lgkmcnt(0)
	s_load_dwordx4 s[12:15], s[8:9], 0x0
	v_and_b32_e32 v86, 31, v141
	v_and_b32_e32 v108, 63, v141
	v_lshrrev_b32_e32 v110, 6, v141
	s_waitcnt lgkmcnt(0)
	v_mad_u64_u32 v[0:1], null, s14, v112, 0
	v_mad_u64_u32 v[2:3], null, s12, v141, 0
	s_mul_i32 s6, s13, 0x2a00
	s_mul_hi_u32 s7, s12, 0x2a00
	s_mul_i32 s8, s12, 0x2a00
	s_add_i32 s7, s7, s6
	v_add_co_u32 v143, s6, s0, v142
	v_mad_u64_u32 v[4:5], null, s15, v112, v[1:2]
	v_add_co_ci_u32_e64 v144, null, s1, 0, s6
	v_mad_u64_u32 v[5:6], null, s13, v141, v[3:4]
	v_mov_b32_e32 v1, v4
	v_lshlrev_b64 v[0:1], 4, v[0:1]
	v_mov_b32_e32 v3, v5
	v_add_co_u32 v0, vcc_lo, s18, v0
	v_lshlrev_b64 v[2:3], 4, v[2:3]
	v_add_co_ci_u32_e32 v1, vcc_lo, s19, v1, vcc_lo
	v_add_co_u32 v8, vcc_lo, v0, v2
	v_add_co_ci_u32_e32 v9, vcc_lo, v1, v3, vcc_lo
	global_load_dwordx4 v[0:3], v142, s[0:1]
	v_add_co_u32 v10, vcc_lo, v8, s8
	v_add_co_ci_u32_e32 v11, vcc_lo, s7, v9, vcc_lo
	v_add_co_u32 v4, vcc_lo, 0x2800, v143
	s_mul_i32 s0, s13, 0xffffe400
	v_mad_u64_u32 v[16:17], null, 0xffffe400, s12, v[10:11]
	v_add_co_ci_u32_e32 v5, vcc_lo, 0, v144, vcc_lo
	v_add_co_u32 v6, vcc_lo, 0x800, v143
	s_sub_i32 s0, s0, s12
	v_add_co_ci_u32_e32 v7, vcc_lo, 0, v144, vcc_lo
	v_add_nc_u32_e32 v17, s0, v17
	v_add_co_u32 v18, vcc_lo, 0x3800, v143
	v_add_co_ci_u32_e32 v19, vcc_lo, 0, v144, vcc_lo
	v_add_co_u32 v20, vcc_lo, v16, s8
	v_add_co_ci_u32_e32 v21, vcc_lo, s7, v17, vcc_lo
	;; [unrolled: 2-line block ×3, first 2 shown]
	v_mad_u64_u32 v[42:43], null, 0xffffe400, s12, v[20:21]
	v_add_co_u32 v44, vcc_lo, 0x4000, v143
	v_add_co_ci_u32_e32 v45, vcc_lo, 0, v144, vcc_lo
	s_clause 0x1
	global_load_dwordx4 v[12:15], v[4:5], off offset:512
	global_load_dwordx4 v[4:7], v[6:7], off offset:1536
	s_clause 0x3
	global_load_dwordx4 v[24:27], v[8:9], off
	global_load_dwordx4 v[28:31], v[10:11], off
	;; [unrolled: 1-line block ×4, first 2 shown]
	v_add_nc_u32_e32 v43, s0, v43
	v_add_co_u32 v46, vcc_lo, v42, s8
	s_mov_b32 s0, 0xe8584caa
	s_mov_b32 s1, 0x3febb67a
	v_add_co_ci_u32_e32 v47, vcc_lo, s7, v43, vcc_lo
	s_clause 0x1
	global_load_dwordx4 v[20:23], v[18:19], off
	global_load_dwordx4 v[8:11], v[40:41], off offset:1024
	global_load_dwordx4 v[40:43], v[42:43], off
	global_load_dwordx4 v[16:19], v[44:45], off offset:1536
	global_load_dwordx4 v[44:47], v[46:47], off
	s_load_dwordx4 s[8:11], s[10:11], 0x0
	s_mov_b32 s7, 0xbfebb67a
	s_mov_b32 s6, s0
	v_cmp_gt_u16_e32 vcc_lo, 0xc0, v60
	s_waitcnt vmcnt(8)
	v_mul_f64 v[48:49], v[26:27], v[2:3]
	v_mul_f64 v[50:51], v[24:25], v[2:3]
	s_waitcnt vmcnt(7)
	v_mul_f64 v[52:53], v[30:31], v[14:15]
	v_mul_f64 v[54:55], v[28:29], v[14:15]
	;; [unrolled: 3-line block ×6, first 2 shown]
	v_fma_f64 v[24:25], v[24:25], v[0:1], v[48:49]
	v_fma_f64 v[26:27], v[26:27], v[0:1], -v[50:51]
	v_fma_f64 v[28:29], v[28:29], v[12:13], v[52:53]
	v_fma_f64 v[30:31], v[30:31], v[12:13], -v[54:55]
	v_fma_f64 v[32:33], v[32:33], v[4:5], v[56:57]
	v_fma_f64 v[34:35], v[34:35], v[4:5], -v[58:59]
	v_fma_f64 v[36:37], v[36:37], v[20:21], v[61:62]
	v_fma_f64 v[38:39], v[38:39], v[20:21], -v[63:64]
	v_fma_f64 v[40:41], v[40:41], v[8:9], v[65:66]
	v_fma_f64 v[42:43], v[42:43], v[8:9], -v[67:68]
	v_fma_f64 v[44:45], v[44:45], v[16:17], v[69:70]
	v_fma_f64 v[46:47], v[46:47], v[16:17], -v[71:72]
	v_and_b32_e32 v68, 1, v141
	v_add_nc_u32_e32 v61, 0xe0, v141
	ds_write_b128 v142, v[24:27]
	ds_write_b128 v142, v[28:31] offset:10752
	ds_write_b128 v142, v[32:35] offset:3584
	;; [unrolled: 1-line block ×5, first 2 shown]
	s_waitcnt lgkmcnt(0)
	s_barrier
	buffer_gl0_inv
	ds_read_b128 v[24:27], v142 offset:10752
	ds_read_b128 v[28:31], v142
	ds_read_b128 v[32:35], v142 offset:3584
	ds_read_b128 v[36:39], v142 offset:14336
	;; [unrolled: 1-line block ×4, first 2 shown]
	v_lshlrev_b32_e32 v146, 5, v61
	s_waitcnt lgkmcnt(0)
	s_barrier
	buffer_gl0_inv
	v_and_b32_e32 v109, 63, v61
	v_add_f64 v[24:25], v[28:29], -v[24:25]
	v_add_f64 v[26:27], v[30:31], -v[26:27]
	;; [unrolled: 1-line block ×6, first 2 shown]
	v_lshlrev_b32_e32 v44, 1, v141
	v_lshlrev_b32_e32 v47, 4, v68
	v_add_nc_u32_e32 v45, 0x380, v44
	v_lshlrev_b32_e32 v46, 4, v44
	v_lshlrev_b32_e32 v145, 4, v45
	v_fma_f64 v[28:29], v[28:29], 2.0, -v[24:25]
	v_fma_f64 v[30:31], v[30:31], 2.0, -v[26:27]
	;; [unrolled: 1-line block ×6, first 2 shown]
	ds_write_b128 v147, v[24:27] offset:16
	ds_write_b128 v147, v[28:31]
	ds_write_b128 v147, v[32:35] offset:7168
	ds_write_b128 v146, v[36:39] offset:16
	;; [unrolled: 1-line block ×4, first 2 shown]
	s_waitcnt lgkmcnt(0)
	s_barrier
	buffer_gl0_inv
	global_load_dwordx4 v[24:27], v47, s[2:3]
	ds_read_b128 v[28:31], v142 offset:10752
	ds_read_b128 v[32:35], v142 offset:14336
	;; [unrolled: 1-line block ×4, first 2 shown]
	ds_read_b128 v[46:49], v142
	ds_read_b128 v[50:53], v142 offset:3584
	s_waitcnt vmcnt(0) lgkmcnt(0)
	s_barrier
	buffer_gl0_inv
	v_mul_f64 v[54:55], v[30:31], v[26:27]
	v_mul_f64 v[56:57], v[28:29], v[26:27]
	;; [unrolled: 1-line block ×6, first 2 shown]
	v_fma_f64 v[28:29], v[28:29], v[24:25], -v[54:55]
	v_fma_f64 v[30:31], v[30:31], v[24:25], v[56:57]
	v_fma_f64 v[32:33], v[32:33], v[24:25], -v[58:59]
	v_fma_f64 v[34:35], v[34:35], v[24:25], v[62:63]
	;; [unrolled: 2-line block ×3, first 2 shown]
	v_and_b32_e32 v59, 3, v141
	v_lshlrev_b32_e32 v58, 4, v59
	v_add_f64 v[28:29], v[46:47], -v[28:29]
	v_add_f64 v[30:31], v[48:49], -v[30:31]
	;; [unrolled: 1-line block ×6, first 2 shown]
	v_fma_f64 v[54:55], v[46:47], 2.0, -v[28:29]
	v_fma_f64 v[56:57], v[48:49], 2.0, -v[30:31]
	;; [unrolled: 1-line block ×6, first 2 shown]
	v_lshlrev_b32_e32 v46, 1, v61
	v_and_or_b32 v51, 0x1fc, v44, v68
	v_and_or_b32 v53, 0x7fc, v45, v68
	v_lshrrev_b32_e32 v61, 6, v61
	v_and_or_b32 v52, 0x3fc, v46, v68
	v_lshlrev_b32_e32 v150, 4, v51
	v_lshlrev_b32_e32 v148, 4, v53
	v_mul_u32_u24_e32 v61, 0xc0, v61
	v_lshlrev_b32_e32 v149, 4, v52
	ds_write_b128 v150, v[28:31] offset:32
	ds_write_b128 v150, v[54:57]
	ds_write_b128 v149, v[47:50]
	ds_write_b128 v149, v[32:35] offset:32
	ds_write_b128 v148, v[40:43]
	ds_write_b128 v148, v[36:39] offset:32
	s_waitcnt lgkmcnt(0)
	s_barrier
	buffer_gl0_inv
	global_load_dwordx4 v[28:31], v58, s[2:3] offset:32
	ds_read_b128 v[32:35], v142 offset:10752
	ds_read_b128 v[36:39], v142 offset:14336
	;; [unrolled: 1-line block ×4, first 2 shown]
	ds_read_b128 v[51:54], v142
	ds_read_b128 v[55:58], v142 offset:3584
	s_waitcnt vmcnt(0) lgkmcnt(0)
	s_barrier
	buffer_gl0_inv
	v_or_b32_e32 v61, v61, v109
	v_lshlrev_b32_e32 v163, 4, v61
	v_mul_f64 v[62:63], v[34:35], v[30:31]
	v_mul_f64 v[64:65], v[32:33], v[30:31]
	;; [unrolled: 1-line block ×6, first 2 shown]
	v_fma_f64 v[32:33], v[32:33], v[28:29], -v[62:63]
	v_fma_f64 v[34:35], v[34:35], v[28:29], v[64:65]
	v_fma_f64 v[36:37], v[36:37], v[28:29], -v[66:67]
	v_fma_f64 v[38:39], v[38:39], v[28:29], v[68:69]
	;; [unrolled: 2-line block ×3, first 2 shown]
	v_and_or_b32 v62, 0x1f8, v44, v59
	v_and_or_b32 v63, 0x3f8, v46, v59
	v_and_or_b32 v59, 0x7f8, v45, v59
	v_lshlrev_b32_e32 v64, 4, v78
	v_lshlrev_b32_e32 v153, 4, v62
	v_lshlrev_b32_e32 v152, 4, v63
	v_lshlrev_b32_e32 v151, 4, v59
	v_and_b32_e32 v59, 15, v141
	v_add_f64 v[32:33], v[51:52], -v[32:33]
	v_add_f64 v[34:35], v[53:54], -v[34:35]
	;; [unrolled: 1-line block ×6, first 2 shown]
	v_fma_f64 v[51:52], v[51:52], 2.0, -v[32:33]
	v_fma_f64 v[53:54], v[53:54], 2.0, -v[34:35]
	;; [unrolled: 1-line block ×6, first 2 shown]
	ds_write_b128 v153, v[32:35] offset:64
	ds_write_b128 v153, v[51:54]
	ds_write_b128 v152, v[55:58]
	ds_write_b128 v152, v[36:39] offset:64
	ds_write_b128 v151, v[47:50]
	ds_write_b128 v151, v[40:43] offset:64
	s_waitcnt lgkmcnt(0)
	s_barrier
	buffer_gl0_inv
	global_load_dwordx4 v[32:35], v64, s[2:3] offset:96
	ds_read_b128 v[36:39], v142 offset:10752
	ds_read_b128 v[40:43], v142 offset:14336
	;; [unrolled: 1-line block ×4, first 2 shown]
	ds_read_b128 v[55:58], v142
	ds_read_b128 v[62:65], v142 offset:3584
	s_waitcnt vmcnt(0) lgkmcnt(0)
	s_barrier
	buffer_gl0_inv
	v_mul_f64 v[66:67], v[38:39], v[34:35]
	v_mul_f64 v[68:69], v[36:37], v[34:35]
	;; [unrolled: 1-line block ×6, first 2 shown]
	v_fma_f64 v[36:37], v[36:37], v[32:33], -v[66:67]
	v_fma_f64 v[38:39], v[38:39], v[32:33], v[68:69]
	v_fma_f64 v[40:41], v[40:41], v[32:33], -v[70:71]
	v_fma_f64 v[42:43], v[42:43], v[32:33], v[72:73]
	;; [unrolled: 2-line block ×3, first 2 shown]
	v_and_or_b32 v66, 0x1f0, v44, v78
	v_and_or_b32 v67, 0x3f0, v46, v78
	;; [unrolled: 1-line block ×3, first 2 shown]
	v_lshlrev_b32_e32 v69, 4, v59
	v_lshlrev_b32_e32 v156, 4, v66
	;; [unrolled: 1-line block ×4, first 2 shown]
	v_add_f64 v[36:37], v[55:56], -v[36:37]
	v_add_f64 v[38:39], v[57:58], -v[38:39]
	;; [unrolled: 1-line block ×6, first 2 shown]
	v_fma_f64 v[55:56], v[55:56], 2.0, -v[36:37]
	v_fma_f64 v[57:58], v[57:58], 2.0, -v[38:39]
	;; [unrolled: 1-line block ×6, first 2 shown]
	ds_write_b128 v156, v[36:39] offset:128
	ds_write_b128 v156, v[55:58]
	ds_write_b128 v155, v[62:65]
	ds_write_b128 v155, v[40:43] offset:128
	ds_write_b128 v154, v[51:54]
	ds_write_b128 v154, v[47:50] offset:128
	s_waitcnt lgkmcnt(0)
	s_barrier
	buffer_gl0_inv
	global_load_dwordx4 v[36:39], v69, s[2:3] offset:224
	ds_read_b128 v[40:43], v142 offset:10752
	ds_read_b128 v[47:50], v142 offset:14336
	;; [unrolled: 1-line block ×4, first 2 shown]
	ds_read_b128 v[62:65], v142
	ds_read_b128 v[66:69], v142 offset:3584
	s_waitcnt vmcnt(0) lgkmcnt(0)
	s_barrier
	buffer_gl0_inv
	v_mul_f64 v[70:71], v[42:43], v[38:39]
	v_mul_f64 v[72:73], v[40:41], v[38:39]
	;; [unrolled: 1-line block ×6, first 2 shown]
	v_fma_f64 v[40:41], v[40:41], v[36:37], -v[70:71]
	v_fma_f64 v[42:43], v[42:43], v[36:37], v[72:73]
	v_fma_f64 v[47:48], v[47:48], v[36:37], -v[74:75]
	v_fma_f64 v[49:50], v[49:50], v[36:37], v[76:77]
	;; [unrolled: 2-line block ×3, first 2 shown]
	v_and_or_b32 v70, 0x1e0, v44, v59
	v_and_or_b32 v71, 0x3e0, v46, v59
	;; [unrolled: 1-line block ×3, first 2 shown]
	v_lshlrev_b32_e32 v72, 4, v86
	v_and_or_b32 v44, 0x1c0, v44, v86
	v_lshlrev_b32_e32 v159, 4, v70
	v_lshlrev_b32_e32 v158, 4, v71
	;; [unrolled: 1-line block ×3, first 2 shown]
	v_and_or_b32 v46, 0x3c0, v46, v86
	v_and_or_b32 v45, 0x7c0, v45, v86
	v_lshlrev_b32_e32 v59, 5, v108
	v_lshlrev_b32_e32 v162, 4, v44
	;; [unrolled: 1-line block ×4, first 2 shown]
	v_add_f64 v[40:41], v[62:63], -v[40:41]
	v_add_f64 v[42:43], v[64:65], -v[42:43]
	v_add_f64 v[47:48], v[66:67], -v[47:48]
	v_add_f64 v[49:50], v[68:69], -v[49:50]
	v_add_f64 v[51:52], v[55:56], -v[51:52]
	v_add_f64 v[53:54], v[57:58], -v[53:54]
	v_fma_f64 v[62:63], v[62:63], 2.0, -v[40:41]
	v_fma_f64 v[64:65], v[64:65], 2.0, -v[42:43]
	;; [unrolled: 1-line block ×6, first 2 shown]
	ds_write_b128 v159, v[40:43] offset:256
	ds_write_b128 v159, v[62:65]
	ds_write_b128 v158, v[66:69]
	ds_write_b128 v158, v[47:50] offset:256
	ds_write_b128 v157, v[55:58]
	ds_write_b128 v157, v[51:54] offset:256
	s_waitcnt lgkmcnt(0)
	s_barrier
	buffer_gl0_inv
	global_load_dwordx4 v[40:43], v72, s[2:3] offset:480
	ds_read_b128 v[47:50], v142 offset:10752
	ds_read_b128 v[51:54], v142 offset:14336
	;; [unrolled: 1-line block ×4, first 2 shown]
	ds_read_b128 v[66:69], v142
	ds_read_b128 v[70:73], v142 offset:3584
	s_waitcnt vmcnt(0) lgkmcnt(0)
	s_barrier
	buffer_gl0_inv
	v_mul_f64 v[74:75], v[49:50], v[42:43]
	v_mul_f64 v[76:77], v[47:48], v[42:43]
	;; [unrolled: 1-line block ×6, first 2 shown]
	v_fma_f64 v[47:48], v[47:48], v[40:41], -v[74:75]
	v_fma_f64 v[49:50], v[49:50], v[40:41], v[76:77]
	v_fma_f64 v[51:52], v[51:52], v[40:41], -v[78:79]
	v_fma_f64 v[53:54], v[53:54], v[40:41], v[80:81]
	;; [unrolled: 2-line block ×3, first 2 shown]
	v_lshlrev_b32_e32 v74, 5, v109
	v_add_f64 v[47:48], v[66:67], -v[47:48]
	v_add_f64 v[49:50], v[68:69], -v[49:50]
	;; [unrolled: 1-line block ×6, first 2 shown]
	v_fma_f64 v[66:67], v[66:67], 2.0, -v[47:48]
	v_fma_f64 v[68:69], v[68:69], 2.0, -v[49:50]
	;; [unrolled: 1-line block ×6, first 2 shown]
	ds_write_b128 v162, v[47:50] offset:512
	ds_write_b128 v162, v[66:69]
	ds_write_b128 v161, v[70:73]
	ds_write_b128 v161, v[51:54] offset:512
	ds_write_b128 v160, v[62:65]
	ds_write_b128 v160, v[55:58] offset:512
	s_waitcnt lgkmcnt(0)
	s_barrier
	buffer_gl0_inv
	s_clause 0x3
	global_load_dwordx4 v[48:51], v59, s[2:3] offset:992
	global_load_dwordx4 v[44:47], v59, s[2:3] offset:1008
	;; [unrolled: 1-line block ×4, first 2 shown]
	ds_read_b128 v[62:65], v142 offset:7168
	ds_read_b128 v[66:69], v142 offset:14336
	;; [unrolled: 1-line block ×4, first 2 shown]
	s_waitcnt vmcnt(3) lgkmcnt(3)
	v_mul_f64 v[78:79], v[64:65], v[50:51]
	s_waitcnt vmcnt(2) lgkmcnt(2)
	v_mul_f64 v[80:81], v[68:69], v[46:47]
	v_mul_f64 v[82:83], v[62:63], v[50:51]
	;; [unrolled: 1-line block ×3, first 2 shown]
	s_waitcnt vmcnt(1) lgkmcnt(1)
	v_mul_f64 v[86:87], v[72:73], v[54:55]
	s_waitcnt vmcnt(0) lgkmcnt(0)
	v_mul_f64 v[88:89], v[76:77], v[58:59]
	v_mul_f64 v[90:91], v[70:71], v[54:55]
	;; [unrolled: 1-line block ×3, first 2 shown]
	v_fma_f64 v[78:79], v[62:63], v[48:49], -v[78:79]
	v_fma_f64 v[80:81], v[66:67], v[44:45], -v[80:81]
	v_fma_f64 v[82:83], v[64:65], v[48:49], v[82:83]
	v_fma_f64 v[84:85], v[68:69], v[44:45], v[84:85]
	v_fma_f64 v[70:71], v[70:71], v[52:53], -v[86:87]
	v_fma_f64 v[74:75], v[74:75], v[56:57], -v[88:89]
	v_fma_f64 v[72:73], v[72:73], v[52:53], v[90:91]
	v_fma_f64 v[76:77], v[76:77], v[56:57], v[92:93]
	ds_read_b128 v[62:65], v142
	ds_read_b128 v[66:69], v142 offset:3584
	s_waitcnt lgkmcnt(0)
	s_barrier
	buffer_gl0_inv
	v_add_f64 v[86:87], v[78:79], v[80:81]
	v_add_f64 v[88:89], v[82:83], v[84:85]
	v_add_f64 v[90:91], v[70:71], v[74:75]
	v_add_f64 v[94:95], v[64:65], v[82:83]
	v_add_f64 v[92:93], v[72:73], v[76:77]
	v_add_f64 v[96:97], v[62:63], v[78:79]
	v_add_f64 v[82:83], v[82:83], -v[84:85]
	v_add_f64 v[98:99], v[68:69], v[72:73]
	v_add_f64 v[100:101], v[66:67], v[70:71]
	v_add_f64 v[78:79], v[78:79], -v[80:81]
	v_add_f64 v[72:73], v[72:73], -v[76:77]
	;; [unrolled: 1-line block ×3, first 2 shown]
	v_fma_f64 v[62:63], v[86:87], -0.5, v[62:63]
	v_fma_f64 v[64:65], v[88:89], -0.5, v[64:65]
	;; [unrolled: 1-line block ×3, first 2 shown]
	v_add_f64 v[86:87], v[94:95], v[84:85]
	v_fma_f64 v[68:69], v[92:93], -0.5, v[68:69]
	v_add_f64 v[84:85], v[96:97], v[80:81]
	v_add_f64 v[98:99], v[98:99], v[76:77]
	;; [unrolled: 1-line block ×3, first 2 shown]
	v_fma_f64 v[88:89], v[82:83], s[0:1], v[62:63]
	v_fma_f64 v[92:93], v[82:83], s[6:7], v[62:63]
	;; [unrolled: 1-line block ×8, first 2 shown]
	v_mul_u32_u24_e32 v62, 0xc0, v110
	v_or_b32_e32 v62, v62, v108
                                        ; implicit-def: $vgpr108_vgpr109
	v_lshlrev_b32_e32 v164, 4, v62
	ds_write_b128 v164, v[84:87]
	ds_write_b128 v164, v[88:91] offset:1024
	ds_write_b128 v164, v[92:95] offset:2048
	ds_write_b128 v163, v[96:99]
	ds_write_b128 v163, v[100:103] offset:1024
	ds_write_b128 v163, v[104:107] offset:2048
	s_waitcnt lgkmcnt(0)
	s_barrier
	buffer_gl0_inv
	s_and_saveexec_b32 s0, vcc_lo
	s_cbranch_execz .LBB0_3
; %bb.2:
	ds_read_b128 v[84:87], v142
	ds_read_b128 v[88:91], v142 offset:3072
	ds_read_b128 v[92:95], v142 offset:6144
	;; [unrolled: 1-line block ×6, first 2 shown]
.LBB0_3:
	s_or_b32 exec_lo, exec_lo, s0
	v_add_nc_u32_e32 v60, 0xffffff40, v141
	s_mov_b32 s6, 0xaaaaaaaa
	s_mov_b32 s7, 0xbff2aaaa
	v_cndmask_b32_e32 v60, v60, v141, vcc_lo
	v_mul_i32_i24_e32 v61, 0x60, v60
	v_mul_hi_i32_i24_e32 v60, 0x60, v60
	v_add_co_u32 v61, s0, s2, v61
	v_add_co_ci_u32_e64 v60, s0, s3, v60, s0
	v_add_co_u32 v70, s1, 0x800, v61
	v_add_co_u32 v68, s0, 0xbe0, v61
	;; [unrolled: 1-line block ×3, first 2 shown]
	v_add_co_ci_u32_e64 v71, s1, 0, v60, s1
	v_add_co_ci_u32_e64 v69, s0, 0, v60, s0
	;; [unrolled: 1-line block ×3, first 2 shown]
	s_clause 0x5
	global_load_dwordx4 v[64:67], v[70:71], off offset:992
	global_load_dwordx4 v[60:63], v[68:69], off offset:16
	;; [unrolled: 1-line block ×6, first 2 shown]
	s_mov_b32 s0, 0x37e14327
	s_mov_b32 s2, 0xb247c609
	s_mov_b32 s1, 0x3fe948f6
	s_mov_b32 s3, 0x3fd5d0dc
	s_waitcnt vmcnt(5) lgkmcnt(5)
	v_mul_f64 v[113:114], v[90:91], v[66:67]
	v_mul_f64 v[115:116], v[88:89], v[66:67]
	s_waitcnt vmcnt(4) lgkmcnt(4)
	v_mul_f64 v[117:118], v[94:95], v[62:63]
	v_mul_f64 v[119:120], v[92:93], v[62:63]
	;; [unrolled: 3-line block ×3, first 2 shown]
	s_waitcnt vmcnt(2)
	v_mul_f64 v[125:126], v[106:107], v[78:79]
	v_mul_f64 v[127:128], v[104:105], v[78:79]
	s_waitcnt vmcnt(1)
	v_mul_f64 v[129:130], v[98:99], v[74:75]
	v_mul_f64 v[131:132], v[96:97], v[74:75]
	;; [unrolled: 3-line block ×3, first 2 shown]
	v_fma_f64 v[88:89], v[88:89], v[64:65], -v[113:114]
	v_fma_f64 v[90:91], v[90:91], v[64:65], v[115:116]
	v_fma_f64 v[113:114], v[92:93], v[60:61], -v[117:118]
	v_fma_f64 v[115:116], v[94:95], v[60:61], v[119:120]
	v_fma_f64 v[94:95], v[108:109], v[80:81], -v[121:122]
	v_fma_f64 v[108:109], v[110:111], v[80:81], v[123:124]
	v_fma_f64 v[110:111], v[104:105], v[76:77], -v[125:126]
	v_fma_f64 v[106:107], v[106:107], v[76:77], v[127:128]
	v_fma_f64 v[117:118], v[96:97], v[72:73], -v[129:130]
	v_fma_f64 v[119:120], v[98:99], v[72:73], v[131:132]
	v_fma_f64 v[100:101], v[100:101], v[68:69], -v[133:134]
	v_fma_f64 v[121:122], v[102:103], v[68:69], v[135:136]
	v_add_f64 v[92:93], v[88:89], v[94:95]
	v_add_f64 v[98:99], v[90:91], v[108:109]
	;; [unrolled: 1-line block ×4, first 2 shown]
	v_add_f64 v[104:105], v[88:89], -v[94:95]
	v_add_f64 v[94:95], v[90:91], -v[108:109]
	v_add_f64 v[88:89], v[117:118], v[100:101]
	v_add_f64 v[90:91], v[119:120], v[121:122]
	v_add_f64 v[108:109], v[100:101], -v[117:118]
	v_add_f64 v[117:118], v[121:122], -v[119:120]
	;; [unrolled: 1-line block ×4, first 2 shown]
	v_add_f64 v[119:120], v[96:97], v[92:93]
	v_add_f64 v[121:122], v[102:103], v[98:99]
	v_add_f64 v[106:107], v[92:93], -v[88:89]
	v_add_f64 v[110:111], v[98:99], -v[90:91]
	;; [unrolled: 1-line block ×5, first 2 shown]
	v_add_f64 v[137:138], v[108:109], v[113:114]
	v_add_f64 v[139:140], v[117:118], v[100:101]
	v_add_f64 v[129:130], v[108:109], -v[113:114]
	v_add_f64 v[127:128], v[117:118], -v[100:101]
	v_add_f64 v[131:132], v[88:89], v[119:120]
	v_add_f64 v[165:166], v[90:91], v[121:122]
	v_add_f64 v[121:122], v[88:89], -v[96:97]
	v_mul_f64 v[117:118], v[106:107], s[0:1]
	v_mul_f64 v[119:120], v[110:111], s[0:1]
	;; [unrolled: 1-line block ×4, first 2 shown]
	s_mov_b32 s0, 0x36b3c0b5
	s_mov_b32 s2, 0xe976ee23
	s_mov_b32 s1, 0x3fac98ee
	s_mov_b32 s3, 0xbfe11646
	v_add_f64 v[137:138], v[137:138], v[104:105]
	v_add_f64 v[139:140], v[139:140], v[94:95]
	;; [unrolled: 1-line block ×4, first 2 shown]
	v_fma_f64 v[84:85], v[121:122], s[0:1], v[117:118]
	v_fma_f64 v[86:87], v[123:124], s[0:1], v[119:120]
	;; [unrolled: 1-line block ×6, first 2 shown]
	s_mov_b32 s6, 0x37c3f68c
	s_mov_b32 s7, 0x3fdc38aa
	v_fma_f64 v[110:111], v[137:138], s[6:7], v[106:107]
	v_fma_f64 v[106:107], v[139:140], s[6:7], v[108:109]
	v_add_f64 v[108:109], v[84:85], v[125:126]
	v_add_f64 v[115:116], v[86:87], v[131:132]
	v_add_f64 v[84:85], v[108:109], -v[106:107]
	v_add_f64 v[86:87], v[110:111], v[115:116]
	s_and_saveexec_b32 s12, vcc_lo
	s_cbranch_execz .LBB0_5
; %bb.4:
	v_add_f64 v[104:105], v[113:114], -v[104:105]
	v_add_f64 v[98:99], v[102:103], -v[98:99]
	;; [unrolled: 1-line block ×4, first 2 shown]
	v_mul_f64 v[96:97], v[123:124], s[0:1]
	v_mul_f64 v[100:101], v[129:130], s[2:3]
	;; [unrolled: 1-line block ×4, first 2 shown]
	s_mov_b32 s1, 0xbfebfeb5
	s_mov_b32 s0, 0x429ad128
	;; [unrolled: 1-line block ×4, first 2 shown]
	v_mul_f64 v[121:122], v[137:138], s[6:7]
	v_mul_f64 v[123:124], v[139:140], s[6:7]
	v_fma_f64 v[127:128], v[104:105], s[0:1], -v[135:136]
	v_fma_f64 v[119:120], v[98:99], s[2:3], -v[119:120]
	v_fma_f64 v[117:118], v[92:93], s[2:3], -v[117:118]
	v_fma_f64 v[129:130], v[94:95], s[0:1], -v[133:134]
	s_mov_b32 s3, 0x3fe77f67
	s_mov_b32 s1, 0x3febfeb5
	v_fma_f64 v[96:97], v[98:99], s[2:3], -v[96:97]
	v_fma_f64 v[98:99], v[104:105], s[0:1], -v[100:101]
	;; [unrolled: 1-line block ×4, first 2 shown]
	v_add_f64 v[100:101], v[121:122], v[127:128]
	v_add_f64 v[102:103], v[119:120], v[131:132]
	v_add_f64 v[104:105], v[117:118], v[125:126]
	v_add_f64 v[113:114], v[123:124], v[129:130]
	v_add_f64 v[117:118], v[96:97], v[131:132]
	v_add_f64 v[119:120], v[121:122], v[98:99]
	v_add_f64 v[121:122], v[92:93], v[125:126]
	v_add_f64 v[123:124], v[123:124], v[94:95]
	v_add_f64 v[94:95], v[115:116], -v[110:111]
	v_add_f64 v[92:93], v[106:107], v[108:109]
	v_add_f64 v[98:99], v[100:101], v[102:103]
	v_add_f64 v[102:103], v[102:103], -v[100:101]
	v_add_f64 v[100:101], v[113:114], v[104:105]
	v_add_f64 v[96:97], v[104:105], -v[113:114]
	;; [unrolled: 2-line block ×3, first 2 shown]
	v_add_f64 v[108:109], v[121:122], -v[123:124]
	v_add_f64 v[104:105], v[123:124], v[121:122]
	ds_write_b128 v142, v[88:91]
	ds_write_b128 v142, v[92:95] offset:3072
	ds_write_b128 v142, v[100:103] offset:6144
	;; [unrolled: 1-line block ×6, first 2 shown]
.LBB0_5:
	s_or_b32 exec_lo, exec_lo, s12
	v_add_co_u32 v88, s0, 0x5000, v143
	v_add_co_ci_u32_e64 v89, s0, 0, v144, s0
	v_add_co_u32 v92, s0, 0x7800, v143
	v_add_co_ci_u32_e64 v93, s0, 0, v144, s0
	;; [unrolled: 2-line block ×5, first 2 shown]
	v_add_co_u32 v108, s0, 0x9800, v143
	s_waitcnt lgkmcnt(0)
	s_barrier
	buffer_gl0_inv
	s_clause 0x2
	global_load_dwordx4 v[88:91], v[88:89], off offset:1024
	global_load_dwordx4 v[92:95], v[92:93], off offset:1536
	;; [unrolled: 1-line block ×3, first 2 shown]
	v_add_co_ci_u32_e64 v109, s0, 0, v144, s0
	s_clause 0x2
	global_load_dwordx4 v[100:103], v[100:101], off offset:1024
	global_load_dwordx4 v[104:107], v[104:105], off
	global_load_dwordx4 v[108:111], v[108:109], off offset:512
	ds_read_b128 v[113:116], v142
	ds_read_b128 v[117:120], v142 offset:10752
	ds_read_b128 v[121:124], v142 offset:3584
	;; [unrolled: 1-line block ×5, first 2 shown]
	s_mov_b32 s0, 0xe8584caa
	s_mov_b32 s1, 0xbfebb67a
	;; [unrolled: 1-line block ×4, first 2 shown]
	s_waitcnt vmcnt(5) lgkmcnt(5)
	v_mul_f64 v[137:138], v[115:116], v[90:91]
	v_mul_f64 v[90:91], v[113:114], v[90:91]
	s_waitcnt vmcnt(4) lgkmcnt(4)
	v_mul_f64 v[139:140], v[119:120], v[94:95]
	v_mul_f64 v[94:95], v[117:118], v[94:95]
	s_waitcnt vmcnt(3) lgkmcnt(3)
	v_mul_f64 v[143:144], v[123:124], v[98:99]
	v_mul_f64 v[98:99], v[121:122], v[98:99]
	s_waitcnt vmcnt(2) lgkmcnt(2)
	v_mul_f64 v[165:166], v[127:128], v[102:103]
	v_mul_f64 v[102:103], v[125:126], v[102:103]
	s_waitcnt vmcnt(1) lgkmcnt(1)
	v_mul_f64 v[167:168], v[131:132], v[106:107]
	v_mul_f64 v[106:107], v[129:130], v[106:107]
	s_waitcnt vmcnt(0) lgkmcnt(0)
	v_mul_f64 v[169:170], v[135:136], v[110:111]
	v_mul_f64 v[110:111], v[133:134], v[110:111]
	v_fma_f64 v[113:114], v[113:114], v[88:89], -v[137:138]
	v_fma_f64 v[115:116], v[115:116], v[88:89], v[90:91]
	v_fma_f64 v[88:89], v[117:118], v[92:93], -v[139:140]
	v_fma_f64 v[90:91], v[119:120], v[92:93], v[94:95]
	;; [unrolled: 2-line block ×6, first 2 shown]
	ds_write_b128 v142, v[113:116]
	ds_write_b128 v142, v[88:91] offset:10752
	ds_write_b128 v142, v[92:95] offset:3584
	;; [unrolled: 1-line block ×5, first 2 shown]
	s_waitcnt lgkmcnt(0)
	s_barrier
	buffer_gl0_inv
	ds_read_b128 v[88:91], v142 offset:10752
	ds_read_b128 v[92:95], v142
	ds_read_b128 v[96:99], v142 offset:3584
	ds_read_b128 v[100:103], v142 offset:14336
	ds_read_b128 v[104:107], v142 offset:7168
	ds_read_b128 v[108:111], v142 offset:17920
	s_waitcnt lgkmcnt(0)
	s_barrier
	buffer_gl0_inv
	v_add_f64 v[88:89], v[92:93], -v[88:89]
	v_add_f64 v[90:91], v[94:95], -v[90:91]
	v_add_f64 v[100:101], v[96:97], -v[100:101]
	v_add_f64 v[102:103], v[98:99], -v[102:103]
	v_add_f64 v[108:109], v[104:105], -v[108:109]
	v_add_f64 v[110:111], v[106:107], -v[110:111]
	v_fma_f64 v[92:93], v[92:93], 2.0, -v[88:89]
	v_fma_f64 v[94:95], v[94:95], 2.0, -v[90:91]
	v_fma_f64 v[96:97], v[96:97], 2.0, -v[100:101]
	v_fma_f64 v[98:99], v[98:99], 2.0, -v[102:103]
	v_fma_f64 v[104:105], v[104:105], 2.0, -v[108:109]
	v_fma_f64 v[106:107], v[106:107], 2.0, -v[110:111]
	ds_write_b128 v147, v[88:91] offset:16
	ds_write_b128 v147, v[92:95]
	ds_write_b128 v146, v[96:99]
	ds_write_b128 v146, v[100:103] offset:16
	ds_write_b128 v145, v[104:107]
	ds_write_b128 v145, v[108:111] offset:16
	s_waitcnt lgkmcnt(0)
	s_barrier
	buffer_gl0_inv
	ds_read_b128 v[88:91], v142 offset:10752
	ds_read_b128 v[92:95], v142 offset:14336
	ds_read_b128 v[96:99], v142 offset:17920
	ds_read_b128 v[100:103], v142 offset:7168
	ds_read_b128 v[104:107], v142
	ds_read_b128 v[108:111], v142 offset:3584
	s_waitcnt lgkmcnt(0)
	s_barrier
	buffer_gl0_inv
	v_mul_f64 v[113:114], v[26:27], v[90:91]
	v_mul_f64 v[115:116], v[26:27], v[88:89]
	v_mul_f64 v[117:118], v[26:27], v[94:95]
	v_mul_f64 v[119:120], v[26:27], v[92:93]
	v_mul_f64 v[121:122], v[26:27], v[98:99]
	v_mul_f64 v[26:27], v[26:27], v[96:97]
	v_fma_f64 v[88:89], v[24:25], v[88:89], v[113:114]
	v_fma_f64 v[90:91], v[24:25], v[90:91], -v[115:116]
	v_fma_f64 v[92:93], v[24:25], v[92:93], v[117:118]
	v_fma_f64 v[94:95], v[24:25], v[94:95], -v[119:120]
	v_fma_f64 v[96:97], v[24:25], v[96:97], v[121:122]
	v_fma_f64 v[98:99], v[24:25], v[98:99], -v[26:27]
	v_add_f64 v[24:25], v[104:105], -v[88:89]
	v_add_f64 v[26:27], v[106:107], -v[90:91]
	v_add_f64 v[88:89], v[108:109], -v[92:93]
	v_add_f64 v[90:91], v[110:111], -v[94:95]
	v_add_f64 v[92:93], v[100:101], -v[96:97]
	v_add_f64 v[94:95], v[102:103], -v[98:99]
	v_fma_f64 v[96:97], v[104:105], 2.0, -v[24:25]
	v_fma_f64 v[98:99], v[106:107], 2.0, -v[26:27]
	v_fma_f64 v[104:105], v[108:109], 2.0, -v[88:89]
	v_fma_f64 v[106:107], v[110:111], 2.0, -v[90:91]
	v_fma_f64 v[100:101], v[100:101], 2.0, -v[92:93]
	v_fma_f64 v[102:103], v[102:103], 2.0, -v[94:95]
	ds_write_b128 v150, v[24:27] offset:32
	ds_write_b128 v150, v[96:99]
	ds_write_b128 v149, v[104:107]
	ds_write_b128 v149, v[88:91] offset:32
	ds_write_b128 v148, v[100:103]
	ds_write_b128 v148, v[92:95] offset:32
	s_waitcnt lgkmcnt(0)
	s_barrier
	buffer_gl0_inv
	ds_read_b128 v[24:27], v142 offset:10752
	ds_read_b128 v[88:91], v142 offset:14336
	ds_read_b128 v[92:95], v142 offset:17920
	ds_read_b128 v[96:99], v142 offset:7168
	ds_read_b128 v[100:103], v142
	ds_read_b128 v[104:107], v142 offset:3584
	s_waitcnt lgkmcnt(0)
	s_barrier
	buffer_gl0_inv
	v_mul_f64 v[108:109], v[30:31], v[26:27]
	v_mul_f64 v[110:111], v[30:31], v[24:25]
	v_mul_f64 v[113:114], v[30:31], v[90:91]
	v_mul_f64 v[115:116], v[30:31], v[88:89]
	v_mul_f64 v[117:118], v[30:31], v[94:95]
	v_mul_f64 v[30:31], v[30:31], v[92:93]
	v_fma_f64 v[24:25], v[28:29], v[24:25], v[108:109]
	v_fma_f64 v[26:27], v[28:29], v[26:27], -v[110:111]
	v_fma_f64 v[88:89], v[28:29], v[88:89], v[113:114]
	v_fma_f64 v[90:91], v[28:29], v[90:91], -v[115:116]
	v_fma_f64 v[92:93], v[28:29], v[92:93], v[117:118]
	v_fma_f64 v[94:95], v[28:29], v[94:95], -v[30:31]
	;; [unrolled: 42-line block ×5, first 2 shown]
	v_add_f64 v[24:25], v[88:89], -v[24:25]
	v_add_f64 v[26:27], v[90:91], -v[26:27]
	;; [unrolled: 1-line block ×6, first 2 shown]
	v_fma_f64 v[40:41], v[88:89], 2.0, -v[24:25]
	v_fma_f64 v[42:43], v[90:91], 2.0, -v[26:27]
	;; [unrolled: 1-line block ×6, first 2 shown]
	ds_write_b128 v162, v[24:27] offset:512
	ds_write_b128 v162, v[40:43]
	ds_write_b128 v161, v[88:91]
	ds_write_b128 v161, v[28:31] offset:512
	ds_write_b128 v160, v[36:39]
	ds_write_b128 v160, v[32:35] offset:512
	s_waitcnt lgkmcnt(0)
	s_barrier
	buffer_gl0_inv
	ds_read_b128 v[24:27], v142 offset:7168
	ds_read_b128 v[28:31], v142 offset:14336
	;; [unrolled: 1-line block ×4, first 2 shown]
	s_waitcnt lgkmcnt(3)
	v_mul_f64 v[40:41], v[50:51], v[26:27]
	s_waitcnt lgkmcnt(2)
	v_mul_f64 v[42:43], v[46:47], v[30:31]
	v_mul_f64 v[50:51], v[50:51], v[24:25]
	;; [unrolled: 1-line block ×3, first 2 shown]
	s_waitcnt lgkmcnt(1)
	v_mul_f64 v[88:89], v[54:55], v[34:35]
	s_waitcnt lgkmcnt(0)
	v_mul_f64 v[90:91], v[58:59], v[38:39]
	v_mul_f64 v[54:55], v[54:55], v[32:33]
	;; [unrolled: 1-line block ×3, first 2 shown]
	v_fma_f64 v[40:41], v[48:49], v[24:25], v[40:41]
	v_fma_f64 v[42:43], v[44:45], v[28:29], v[42:43]
	v_fma_f64 v[48:49], v[48:49], v[26:27], -v[50:51]
	v_fma_f64 v[44:45], v[44:45], v[30:31], -v[46:47]
	v_fma_f64 v[32:33], v[52:53], v[32:33], v[88:89]
	v_fma_f64 v[36:37], v[56:57], v[36:37], v[90:91]
	v_fma_f64 v[34:35], v[52:53], v[34:35], -v[54:55]
	v_fma_f64 v[38:39], v[56:57], v[38:39], -v[58:59]
	ds_read_b128 v[24:27], v142
	ds_read_b128 v[28:31], v142 offset:3584
	s_waitcnt lgkmcnt(0)
	s_barrier
	buffer_gl0_inv
	v_add_f64 v[46:47], v[40:41], v[42:43]
	v_add_f64 v[50:51], v[48:49], v[44:45]
	v_add_f64 v[58:59], v[48:49], -v[44:45]
	v_add_f64 v[52:53], v[32:33], v[36:37]
	v_add_f64 v[56:57], v[24:25], v[40:41]
	v_add_f64 v[54:55], v[34:35], v[38:39]
	v_add_f64 v[48:49], v[26:27], v[48:49]
	v_add_f64 v[88:89], v[28:29], v[32:33]
	v_add_f64 v[90:91], v[30:31], v[34:35]
	v_add_f64 v[40:41], v[40:41], -v[42:43]
	v_add_f64 v[92:93], v[34:35], -v[38:39]
	;; [unrolled: 1-line block ×3, first 2 shown]
	v_fma_f64 v[46:47], v[46:47], -0.5, v[24:25]
	v_fma_f64 v[50:51], v[50:51], -0.5, v[26:27]
	;; [unrolled: 1-line block ×3, first 2 shown]
	v_add_f64 v[24:25], v[56:57], v[42:43]
	v_fma_f64 v[54:55], v[54:55], -0.5, v[30:31]
	v_add_f64 v[26:27], v[48:49], v[44:45]
	v_add_f64 v[36:37], v[88:89], v[36:37]
	;; [unrolled: 1-line block ×3, first 2 shown]
	v_fma_f64 v[28:29], v[58:59], s[0:1], v[46:47]
	v_fma_f64 v[32:33], v[58:59], s[2:3], v[46:47]
	;; [unrolled: 1-line block ×8, first 2 shown]
	ds_write_b128 v164, v[24:27]
	ds_write_b128 v164, v[28:31] offset:1024
	ds_write_b128 v164, v[32:35] offset:2048
	ds_write_b128 v163, v[36:39]
	ds_write_b128 v163, v[40:43] offset:1024
	ds_write_b128 v163, v[44:47] offset:2048
	s_waitcnt lgkmcnt(0)
	s_barrier
	buffer_gl0_inv
	s_and_saveexec_b32 s0, vcc_lo
	s_cbranch_execz .LBB0_7
; %bb.6:
	ds_read_b128 v[24:27], v142
	ds_read_b128 v[28:31], v142 offset:3072
	ds_read_b128 v[32:35], v142 offset:6144
	;; [unrolled: 1-line block ×6, first 2 shown]
.LBB0_7:
	s_or_b32 exec_lo, exec_lo, s0
	s_and_saveexec_b32 s0, vcc_lo
	s_cbranch_execz .LBB0_9
; %bb.8:
	s_waitcnt lgkmcnt(0)
	v_mul_f64 v[48:49], v[82:83], v[84:85]
	v_mul_f64 v[50:51], v[66:67], v[28:29]
	v_mul_f64 v[52:53], v[78:79], v[44:45]
	v_mul_f64 v[54:55], v[62:63], v[32:33]
	v_mul_f64 v[56:57], v[66:67], v[30:31]
	v_mul_f64 v[58:59], v[82:83], v[86:87]
	v_mul_f64 v[62:63], v[62:63], v[34:35]
	v_mul_f64 v[66:67], v[78:79], v[46:47]
	v_mul_f64 v[78:79], v[70:71], v[42:43]
	v_mul_f64 v[82:83], v[74:75], v[38:39]
	v_mul_f64 v[74:75], v[74:75], v[36:37]
	v_mul_f64 v[70:71], v[70:71], v[40:41]
	s_mov_b32 s2, 0xe976ee23
	s_mov_b32 s3, 0x3fe11646
	;; [unrolled: 1-line block ×10, first 2 shown]
	v_fma_f64 v[48:49], v[80:81], v[86:87], -v[48:49]
	v_fma_f64 v[30:31], v[64:65], v[30:31], -v[50:51]
	;; [unrolled: 1-line block ×4, first 2 shown]
	v_fma_f64 v[28:29], v[64:65], v[28:29], v[56:57]
	v_fma_f64 v[50:51], v[80:81], v[84:85], v[58:59]
	v_fma_f64 v[32:33], v[60:61], v[32:33], v[62:63]
	v_fma_f64 v[44:45], v[76:77], v[44:45], v[66:67]
	v_fma_f64 v[40:41], v[68:69], v[40:41], v[78:79]
	v_fma_f64 v[36:37], v[72:73], v[36:37], v[82:83]
	v_fma_f64 v[38:39], v[72:73], v[38:39], -v[74:75]
	v_fma_f64 v[42:43], v[68:69], v[42:43], -v[70:71]
	v_add_f64 v[52:53], v[30:31], v[48:49]
	v_add_f64 v[30:31], v[30:31], -v[48:49]
	v_add_f64 v[54:55], v[34:35], v[46:47]
	v_add_f64 v[34:35], v[34:35], -v[46:47]
	;; [unrolled: 2-line block ×4, first 2 shown]
	v_add_f64 v[60:61], v[40:41], -v[36:37]
	v_add_f64 v[36:37], v[36:37], v[40:41]
	v_add_f64 v[44:45], v[38:39], v[42:43]
	v_add_f64 v[38:39], v[42:43], -v[38:39]
	v_add_f64 v[40:41], v[54:55], v[52:53]
	v_add_f64 v[66:67], v[34:35], -v[30:31]
	;; [unrolled: 2-line block ×3, first 2 shown]
	v_add_f64 v[46:47], v[60:61], -v[32:33]
	v_add_f64 v[62:63], v[56:57], -v[36:37]
	;; [unrolled: 1-line block ×5, first 2 shown]
	v_add_f64 v[32:33], v[60:61], v[32:33]
	v_add_f64 v[60:61], v[30:31], -v[38:39]
	v_add_f64 v[52:53], v[54:55], -v[52:53]
	v_add_f64 v[34:35], v[38:39], v[34:35]
	v_add_f64 v[40:41], v[44:45], v[40:41]
	v_add_f64 v[44:45], v[44:45], -v[54:55]
	v_add_f64 v[54:55], v[58:59], -v[56:57]
	v_add_f64 v[42:43], v[36:37], v[42:43]
	v_add_f64 v[36:37], v[36:37], -v[58:59]
	v_mul_f64 v[46:47], v[46:47], s[2:3]
	v_mul_f64 v[56:57], v[62:63], s[6:7]
	;; [unrolled: 1-line block ×4, first 2 shown]
	s_mov_b32 s2, 0x36b3c0b5
	s_mov_b32 s3, 0x3fac98ee
	v_mul_f64 v[58:59], v[64:65], s[12:13]
	v_mul_f64 v[62:63], v[66:67], s[12:13]
	s_mov_b32 s7, 0xbfd5d0dc
	s_mov_b32 s6, 0xb247c609
	v_add_f64 v[28:29], v[32:33], v[28:29]
	v_add_f64 v[30:31], v[34:35], v[30:31]
	;; [unrolled: 1-line block ×3, first 2 shown]
	v_mul_f64 v[38:39], v[44:45], s[2:3]
	v_add_f64 v[24:25], v[24:25], v[42:43]
	v_mul_f64 v[70:71], v[36:37], s[2:3]
	v_fma_f64 v[32:33], v[68:69], s[6:7], v[46:47]
	v_fma_f64 v[74:75], v[54:55], s[16:17], -v[56:57]
	v_fma_f64 v[44:45], v[44:45], s[2:3], v[48:49]
	v_fma_f64 v[72:73], v[60:61], s[6:7], v[50:51]
	s_mov_b32 s7, 0x3fd5d0dc
	v_fma_f64 v[48:49], v[52:53], s[16:17], -v[48:49]
	s_mov_b32 s17, 0x3fe77f67
	v_fma_f64 v[46:47], v[64:65], s[12:13], -v[46:47]
	v_fma_f64 v[58:59], v[68:69], s[6:7], -v[58:59]
	v_fma_f64 v[36:37], v[36:37], s[2:3], v[56:57]
	s_mov_b32 s2, 0x37c3f68c
	s_mov_b32 s3, 0xbfdc38aa
	v_fma_f64 v[40:41], v[40:41], s[14:15], v[26:27]
	v_fma_f64 v[34:35], v[52:53], s[16:17], -v[38:39]
	v_fma_f64 v[38:39], v[66:67], s[12:13], -v[50:51]
	;; [unrolled: 1-line block ×3, first 2 shown]
	v_fma_f64 v[42:43], v[42:43], s[14:15], v[24:25]
	v_fma_f64 v[52:53], v[54:55], s[16:17], -v[70:71]
	v_fma_f64 v[32:33], v[28:29], s[2:3], v[32:33]
	v_fma_f64 v[54:55], v[30:31], s[2:3], v[72:73]
	;; [unrolled: 1-line block ×4, first 2 shown]
	v_add_f64 v[44:45], v[44:45], v[40:41]
	v_add_f64 v[48:49], v[48:49], v[40:41]
	;; [unrolled: 1-line block ×3, first 2 shown]
	v_fma_f64 v[58:59], v[30:31], s[2:3], v[50:51]
	v_add_f64 v[60:61], v[36:37], v[42:43]
	v_add_f64 v[62:63], v[74:75], v[42:43]
	v_fma_f64 v[56:57], v[30:31], s[2:3], v[38:39]
	v_add_f64 v[36:37], v[52:53], v[42:43]
	v_add_f64 v[50:51], v[44:45], -v[32:33]
	v_add_f64 v[34:35], v[28:29], v[48:49]
	v_add_f64 v[38:39], v[40:41], -v[46:47]
	;; [unrolled: 2-line block ×3, first 2 shown]
	v_add_f64 v[48:49], v[54:55], v[60:61]
	v_add_f64 v[30:31], v[32:33], v[44:45]
	;; [unrolled: 1-line block ×3, first 2 shown]
	v_add_f64 v[40:41], v[36:37], -v[56:57]
	v_add_f64 v[36:37], v[56:57], v[36:37]
	v_add_f64 v[32:33], v[62:63], -v[58:59]
	v_add_f64 v[28:29], v[60:61], -v[54:55]
	ds_write_b128 v142, v[24:27]
	ds_write_b128 v142, v[48:51] offset:3072
	ds_write_b128 v142, v[44:47] offset:6144
	ds_write_b128 v142, v[40:43] offset:9216
	ds_write_b128 v142, v[36:39] offset:12288
	ds_write_b128 v142, v[32:35] offset:15360
	ds_write_b128 v142, v[28:31] offset:18432
.LBB0_9:
	s_or_b32 exec_lo, exec_lo, s0
	s_waitcnt lgkmcnt(0)
	s_barrier
	buffer_gl0_inv
	ds_read_b128 v[24:27], v142
	ds_read_b128 v[28:31], v142 offset:10752
	v_mad_u64_u32 v[48:49], null, s10, v112, 0
	ds_read_b128 v[32:35], v142 offset:3584
	v_mad_u64_u32 v[50:51], null, s8, v141, 0
	ds_read_b128 v[36:39], v142 offset:14336
	ds_read_b128 v[40:43], v142 offset:7168
	;; [unrolled: 1-line block ×3, first 2 shown]
	s_mul_i32 s2, s9, 0x2a00
	s_mul_hi_u32 s3, s8, 0x2a00
	s_mov_b32 s0, 0x18618618
	s_add_i32 s3, s3, s2
	s_mul_i32 s2, s8, 0x2a00
	v_mad_u64_u32 v[52:53], null, s11, v112, v[49:50]
	s_mov_b32 s1, 0x3f486186
	s_waitcnt lgkmcnt(5)
	v_mul_f64 v[53:54], v[2:3], v[26:27]
	v_mul_f64 v[2:3], v[2:3], v[24:25]
	v_mad_u64_u32 v[55:56], null, s9, v141, v[51:52]
	s_waitcnt lgkmcnt(4)
	v_mul_f64 v[56:57], v[14:15], v[30:31]
	v_mul_f64 v[14:15], v[14:15], v[28:29]
	s_waitcnt lgkmcnt(3)
	v_mul_f64 v[58:59], v[6:7], v[34:35]
	v_mul_f64 v[6:7], v[6:7], v[32:33]
	;; [unrolled: 3-line block ×5, first 2 shown]
	v_mov_b32_e32 v49, v52
	v_mov_b32_e32 v51, v55
	v_lshlrev_b64 v[48:49], 4, v[48:49]
	v_lshlrev_b64 v[50:51], 4, v[50:51]
	v_fma_f64 v[24:25], v[0:1], v[24:25], v[53:54]
	v_fma_f64 v[2:3], v[0:1], v[26:27], -v[2:3]
	v_add_co_u32 v48, vcc_lo, s4, v48
	v_add_co_ci_u32_e32 v49, vcc_lo, s5, v49, vcc_lo
	v_fma_f64 v[28:29], v[12:13], v[28:29], v[56:57]
	v_add_co_u32 v26, vcc_lo, v48, v50
	v_fma_f64 v[12:13], v[12:13], v[30:31], -v[14:15]
	v_fma_f64 v[14:15], v[4:5], v[32:33], v[58:59]
	v_fma_f64 v[30:31], v[4:5], v[34:35], -v[6:7]
	v_add_co_ci_u32_e32 v27, vcc_lo, v49, v51, vcc_lo
	v_fma_f64 v[32:33], v[20:21], v[36:37], v[60:61]
	v_fma_f64 v[20:21], v[20:21], v[38:39], -v[22:23]
	v_fma_f64 v[22:23], v[8:9], v[40:41], v[62:63]
	v_fma_f64 v[36:37], v[8:9], v[42:43], -v[10:11]
	;; [unrolled: 2-line block ×3, first 2 shown]
	v_add_co_u32 v34, vcc_lo, v26, s2
	v_add_co_ci_u32_e32 v35, vcc_lo, s3, v27, vcc_lo
	v_mul_f64 v[0:1], v[24:25], s[0:1]
	s_mul_i32 s4, s9, 0xffffe400
	v_mul_f64 v[2:3], v[2:3], s[0:1]
	v_mad_u64_u32 v[24:25], null, 0xffffe400, s8, v[34:35]
	s_sub_i32 s4, s4, s8
	v_mul_f64 v[4:5], v[28:29], s[0:1]
	v_mul_f64 v[6:7], v[12:13], s[0:1]
	;; [unrolled: 1-line block ×4, first 2 shown]
	v_add_nc_u32_e32 v25, s4, v25
	v_add_co_u32 v28, vcc_lo, v24, s2
	v_mul_f64 v[12:13], v[32:33], s[0:1]
	v_mul_f64 v[14:15], v[20:21], s[0:1]
	v_add_co_ci_u32_e32 v29, vcc_lo, s3, v25, vcc_lo
	v_mul_f64 v[16:17], v[22:23], s[0:1]
	v_mul_f64 v[18:19], v[36:37], s[0:1]
	;; [unrolled: 1-line block ×4, first 2 shown]
	v_mad_u64_u32 v[30:31], null, 0xffffe400, s8, v[28:29]
	global_store_dwordx4 v[26:27], v[0:3], off
	v_add_nc_u32_e32 v31, s4, v31
	v_add_co_u32 v0, vcc_lo, v30, s2
	v_add_co_ci_u32_e32 v1, vcc_lo, s3, v31, vcc_lo
	global_store_dwordx4 v[34:35], v[4:7], off
	global_store_dwordx4 v[24:25], v[8:11], off
	;; [unrolled: 1-line block ×5, first 2 shown]
.LBB0_10:
	s_endpgm
	.section	.rodata,"a",@progbits
	.p2align	6, 0x0
	.amdhsa_kernel bluestein_single_back_len1344_dim1_dp_op_CI_CI
		.amdhsa_group_segment_fixed_size 21504
		.amdhsa_private_segment_fixed_size 0
		.amdhsa_kernarg_size 104
		.amdhsa_user_sgpr_count 6
		.amdhsa_user_sgpr_private_segment_buffer 1
		.amdhsa_user_sgpr_dispatch_ptr 0
		.amdhsa_user_sgpr_queue_ptr 0
		.amdhsa_user_sgpr_kernarg_segment_ptr 1
		.amdhsa_user_sgpr_dispatch_id 0
		.amdhsa_user_sgpr_flat_scratch_init 0
		.amdhsa_user_sgpr_private_segment_size 0
		.amdhsa_wavefront_size32 1
		.amdhsa_uses_dynamic_stack 0
		.amdhsa_system_sgpr_private_segment_wavefront_offset 0
		.amdhsa_system_sgpr_workgroup_id_x 1
		.amdhsa_system_sgpr_workgroup_id_y 0
		.amdhsa_system_sgpr_workgroup_id_z 0
		.amdhsa_system_sgpr_workgroup_info 0
		.amdhsa_system_vgpr_workitem_id 0
		.amdhsa_next_free_vgpr 171
		.amdhsa_next_free_sgpr 20
		.amdhsa_reserve_vcc 1
		.amdhsa_reserve_flat_scratch 0
		.amdhsa_float_round_mode_32 0
		.amdhsa_float_round_mode_16_64 0
		.amdhsa_float_denorm_mode_32 3
		.amdhsa_float_denorm_mode_16_64 3
		.amdhsa_dx10_clamp 1
		.amdhsa_ieee_mode 1
		.amdhsa_fp16_overflow 0
		.amdhsa_workgroup_processor_mode 1
		.amdhsa_memory_ordered 1
		.amdhsa_forward_progress 0
		.amdhsa_shared_vgpr_count 0
		.amdhsa_exception_fp_ieee_invalid_op 0
		.amdhsa_exception_fp_denorm_src 0
		.amdhsa_exception_fp_ieee_div_zero 0
		.amdhsa_exception_fp_ieee_overflow 0
		.amdhsa_exception_fp_ieee_underflow 0
		.amdhsa_exception_fp_ieee_inexact 0
		.amdhsa_exception_int_div_zero 0
	.end_amdhsa_kernel
	.text
.Lfunc_end0:
	.size	bluestein_single_back_len1344_dim1_dp_op_CI_CI, .Lfunc_end0-bluestein_single_back_len1344_dim1_dp_op_CI_CI
                                        ; -- End function
	.section	.AMDGPU.csdata,"",@progbits
; Kernel info:
; codeLenInByte = 9536
; NumSgprs: 22
; NumVgprs: 171
; ScratchSize: 0
; MemoryBound: 0
; FloatMode: 240
; IeeeMode: 1
; LDSByteSize: 21504 bytes/workgroup (compile time only)
; SGPRBlocks: 2
; VGPRBlocks: 21
; NumSGPRsForWavesPerEU: 22
; NumVGPRsForWavesPerEU: 171
; Occupancy: 5
; WaveLimiterHint : 1
; COMPUTE_PGM_RSRC2:SCRATCH_EN: 0
; COMPUTE_PGM_RSRC2:USER_SGPR: 6
; COMPUTE_PGM_RSRC2:TRAP_HANDLER: 0
; COMPUTE_PGM_RSRC2:TGID_X_EN: 1
; COMPUTE_PGM_RSRC2:TGID_Y_EN: 0
; COMPUTE_PGM_RSRC2:TGID_Z_EN: 0
; COMPUTE_PGM_RSRC2:TIDIG_COMP_CNT: 0
	.text
	.p2alignl 6, 3214868480
	.fill 48, 4, 3214868480
	.type	__hip_cuid_756d51cf7e17e71c,@object ; @__hip_cuid_756d51cf7e17e71c
	.section	.bss,"aw",@nobits
	.globl	__hip_cuid_756d51cf7e17e71c
__hip_cuid_756d51cf7e17e71c:
	.byte	0                               ; 0x0
	.size	__hip_cuid_756d51cf7e17e71c, 1

	.ident	"AMD clang version 19.0.0git (https://github.com/RadeonOpenCompute/llvm-project roc-6.4.0 25133 c7fe45cf4b819c5991fe208aaa96edf142730f1d)"
	.section	".note.GNU-stack","",@progbits
	.addrsig
	.addrsig_sym __hip_cuid_756d51cf7e17e71c
	.amdgpu_metadata
---
amdhsa.kernels:
  - .args:
      - .actual_access:  read_only
        .address_space:  global
        .offset:         0
        .size:           8
        .value_kind:     global_buffer
      - .actual_access:  read_only
        .address_space:  global
        .offset:         8
        .size:           8
        .value_kind:     global_buffer
      - .actual_access:  read_only
        .address_space:  global
        .offset:         16
        .size:           8
        .value_kind:     global_buffer
      - .actual_access:  read_only
        .address_space:  global
        .offset:         24
        .size:           8
        .value_kind:     global_buffer
      - .actual_access:  read_only
        .address_space:  global
        .offset:         32
        .size:           8
        .value_kind:     global_buffer
      - .offset:         40
        .size:           8
        .value_kind:     by_value
      - .address_space:  global
        .offset:         48
        .size:           8
        .value_kind:     global_buffer
      - .address_space:  global
        .offset:         56
        .size:           8
        .value_kind:     global_buffer
      - .address_space:  global
        .offset:         64
        .size:           8
        .value_kind:     global_buffer
      - .address_space:  global
        .offset:         72
        .size:           8
        .value_kind:     global_buffer
      - .offset:         80
        .size:           4
        .value_kind:     by_value
      - .address_space:  global
        .offset:         88
        .size:           8
        .value_kind:     global_buffer
      - .address_space:  global
        .offset:         96
        .size:           8
        .value_kind:     global_buffer
    .group_segment_fixed_size: 21504
    .kernarg_segment_align: 8
    .kernarg_segment_size: 104
    .language:       OpenCL C
    .language_version:
      - 2
      - 0
    .max_flat_workgroup_size: 224
    .name:           bluestein_single_back_len1344_dim1_dp_op_CI_CI
    .private_segment_fixed_size: 0
    .sgpr_count:     22
    .sgpr_spill_count: 0
    .symbol:         bluestein_single_back_len1344_dim1_dp_op_CI_CI.kd
    .uniform_work_group_size: 1
    .uses_dynamic_stack: false
    .vgpr_count:     171
    .vgpr_spill_count: 0
    .wavefront_size: 32
    .workgroup_processor_mode: 1
amdhsa.target:   amdgcn-amd-amdhsa--gfx1030
amdhsa.version:
  - 1
  - 2
...

	.end_amdgpu_metadata
